;; amdgpu-corpus repo=ROCm/rocFFT kind=compiled arch=gfx1030 opt=O3
	.text
	.amdgcn_target "amdgcn-amd-amdhsa--gfx1030"
	.amdhsa_code_object_version 6
	.protected	fft_rtc_back_len416_factors_13_2_16_wgs_64_tpt_32_dp_op_CI_CI_unitstride_sbrr_C2R_dirReg ; -- Begin function fft_rtc_back_len416_factors_13_2_16_wgs_64_tpt_32_dp_op_CI_CI_unitstride_sbrr_C2R_dirReg
	.globl	fft_rtc_back_len416_factors_13_2_16_wgs_64_tpt_32_dp_op_CI_CI_unitstride_sbrr_C2R_dirReg
	.p2align	8
	.type	fft_rtc_back_len416_factors_13_2_16_wgs_64_tpt_32_dp_op_CI_CI_unitstride_sbrr_C2R_dirReg,@function
fft_rtc_back_len416_factors_13_2_16_wgs_64_tpt_32_dp_op_CI_CI_unitstride_sbrr_C2R_dirReg: ; @fft_rtc_back_len416_factors_13_2_16_wgs_64_tpt_32_dp_op_CI_CI_unitstride_sbrr_C2R_dirReg
; %bb.0:
	s_clause 0x2
	s_load_dwordx4 s[12:15], s[4:5], 0x0
	s_load_dwordx4 s[8:11], s[4:5], 0x58
	;; [unrolled: 1-line block ×3, first 2 shown]
	v_lshrrev_b32_e32 v1, 5, v0
	v_mov_b32_e32 v3, 0
	v_lshl_or_b32 v5, s6, 1, v1
	v_mov_b32_e32 v1, 0
	v_mov_b32_e32 v6, v3
	v_mov_b32_e32 v2, 0
	s_waitcnt lgkmcnt(0)
	v_cmp_lt_u64_e64 s0, s[14:15], 2
	s_and_b32 vcc_lo, exec_lo, s0
	s_cbranch_vccnz .LBB0_8
; %bb.1:
	s_load_dwordx2 s[0:1], s[4:5], 0x10
	v_mov_b32_e32 v1, 0
	v_mov_b32_e32 v2, 0
	s_add_u32 s2, s18, 8
	s_addc_u32 s3, s19, 0
	s_add_u32 s6, s16, 8
	s_addc_u32 s7, s17, 0
	v_mov_b32_e32 v65, v2
	v_mov_b32_e32 v64, v1
	s_mov_b64 s[22:23], 1
	s_waitcnt lgkmcnt(0)
	s_add_u32 s20, s0, 8
	s_addc_u32 s21, s1, 0
.LBB0_2:                                ; =>This Inner Loop Header: Depth=1
	s_load_dwordx2 s[24:25], s[20:21], 0x0
                                        ; implicit-def: $vgpr68_vgpr69
	s_mov_b32 s0, exec_lo
	s_waitcnt lgkmcnt(0)
	v_or_b32_e32 v4, s25, v6
	v_cmpx_ne_u64_e32 0, v[3:4]
	s_xor_b32 s1, exec_lo, s0
	s_cbranch_execz .LBB0_4
; %bb.3:                                ;   in Loop: Header=BB0_2 Depth=1
	v_cvt_f32_u32_e32 v4, s24
	v_cvt_f32_u32_e32 v7, s25
	s_sub_u32 s0, 0, s24
	s_subb_u32 s26, 0, s25
	v_fmac_f32_e32 v4, 0x4f800000, v7
	v_rcp_f32_e32 v4, v4
	v_mul_f32_e32 v4, 0x5f7ffffc, v4
	v_mul_f32_e32 v7, 0x2f800000, v4
	v_trunc_f32_e32 v7, v7
	v_fmac_f32_e32 v4, 0xcf800000, v7
	v_cvt_u32_f32_e32 v7, v7
	v_cvt_u32_f32_e32 v4, v4
	v_mul_lo_u32 v8, s0, v7
	v_mul_hi_u32 v9, s0, v4
	v_mul_lo_u32 v10, s26, v4
	v_add_nc_u32_e32 v8, v9, v8
	v_mul_lo_u32 v9, s0, v4
	v_add_nc_u32_e32 v8, v8, v10
	v_mul_hi_u32 v10, v4, v9
	v_mul_lo_u32 v11, v4, v8
	v_mul_hi_u32 v12, v4, v8
	v_mul_hi_u32 v13, v7, v9
	v_mul_lo_u32 v9, v7, v9
	v_mul_hi_u32 v14, v7, v8
	v_mul_lo_u32 v8, v7, v8
	v_add_co_u32 v10, vcc_lo, v10, v11
	v_add_co_ci_u32_e32 v11, vcc_lo, 0, v12, vcc_lo
	v_add_co_u32 v9, vcc_lo, v10, v9
	v_add_co_ci_u32_e32 v9, vcc_lo, v11, v13, vcc_lo
	v_add_co_ci_u32_e32 v10, vcc_lo, 0, v14, vcc_lo
	v_add_co_u32 v8, vcc_lo, v9, v8
	v_add_co_ci_u32_e32 v9, vcc_lo, 0, v10, vcc_lo
	v_add_co_u32 v4, vcc_lo, v4, v8
	v_add_co_ci_u32_e32 v7, vcc_lo, v7, v9, vcc_lo
	v_mul_hi_u32 v8, s0, v4
	v_mul_lo_u32 v10, s26, v4
	v_mul_lo_u32 v9, s0, v7
	v_add_nc_u32_e32 v8, v8, v9
	v_mul_lo_u32 v9, s0, v4
	v_add_nc_u32_e32 v8, v8, v10
	v_mul_hi_u32 v10, v4, v9
	v_mul_lo_u32 v11, v4, v8
	v_mul_hi_u32 v12, v4, v8
	v_mul_hi_u32 v13, v7, v9
	v_mul_lo_u32 v9, v7, v9
	v_mul_hi_u32 v14, v7, v8
	v_mul_lo_u32 v8, v7, v8
	v_add_co_u32 v10, vcc_lo, v10, v11
	v_add_co_ci_u32_e32 v11, vcc_lo, 0, v12, vcc_lo
	v_add_co_u32 v9, vcc_lo, v10, v9
	v_add_co_ci_u32_e32 v9, vcc_lo, v11, v13, vcc_lo
	v_add_co_ci_u32_e32 v10, vcc_lo, 0, v14, vcc_lo
	v_add_co_u32 v8, vcc_lo, v9, v8
	v_add_co_ci_u32_e32 v9, vcc_lo, 0, v10, vcc_lo
	v_add_co_u32 v4, vcc_lo, v4, v8
	v_add_co_ci_u32_e32 v11, vcc_lo, v7, v9, vcc_lo
	v_mul_hi_u32 v13, v5, v4
	v_mad_u64_u32 v[9:10], null, v6, v4, 0
	v_mad_u64_u32 v[7:8], null, v5, v11, 0
	;; [unrolled: 1-line block ×3, first 2 shown]
	v_add_co_u32 v4, vcc_lo, v13, v7
	v_add_co_ci_u32_e32 v7, vcc_lo, 0, v8, vcc_lo
	v_add_co_u32 v4, vcc_lo, v4, v9
	v_add_co_ci_u32_e32 v4, vcc_lo, v7, v10, vcc_lo
	v_add_co_ci_u32_e32 v7, vcc_lo, 0, v12, vcc_lo
	v_add_co_u32 v4, vcc_lo, v4, v11
	v_add_co_ci_u32_e32 v9, vcc_lo, 0, v7, vcc_lo
	v_mul_lo_u32 v10, s25, v4
	v_mad_u64_u32 v[7:8], null, s24, v4, 0
	v_mul_lo_u32 v11, s24, v9
	v_sub_co_u32 v7, vcc_lo, v5, v7
	v_add3_u32 v8, v8, v11, v10
	v_sub_nc_u32_e32 v10, v6, v8
	v_subrev_co_ci_u32_e64 v10, s0, s25, v10, vcc_lo
	v_add_co_u32 v11, s0, v4, 2
	v_add_co_ci_u32_e64 v12, s0, 0, v9, s0
	v_sub_co_u32 v13, s0, v7, s24
	v_sub_co_ci_u32_e32 v8, vcc_lo, v6, v8, vcc_lo
	v_subrev_co_ci_u32_e64 v10, s0, 0, v10, s0
	v_cmp_le_u32_e32 vcc_lo, s24, v13
	v_cmp_eq_u32_e64 s0, s25, v8
	v_cndmask_b32_e64 v13, 0, -1, vcc_lo
	v_cmp_le_u32_e32 vcc_lo, s25, v10
	v_cndmask_b32_e64 v14, 0, -1, vcc_lo
	v_cmp_le_u32_e32 vcc_lo, s24, v7
	;; [unrolled: 2-line block ×3, first 2 shown]
	v_cndmask_b32_e64 v15, 0, -1, vcc_lo
	v_cmp_eq_u32_e32 vcc_lo, s25, v10
	v_cndmask_b32_e64 v7, v15, v7, s0
	v_cndmask_b32_e32 v10, v14, v13, vcc_lo
	v_add_co_u32 v13, vcc_lo, v4, 1
	v_add_co_ci_u32_e32 v14, vcc_lo, 0, v9, vcc_lo
	v_cmp_ne_u32_e32 vcc_lo, 0, v10
	v_cndmask_b32_e32 v8, v14, v12, vcc_lo
	v_cndmask_b32_e32 v10, v13, v11, vcc_lo
	v_cmp_ne_u32_e32 vcc_lo, 0, v7
	v_cndmask_b32_e32 v69, v9, v8, vcc_lo
	v_cndmask_b32_e32 v68, v4, v10, vcc_lo
.LBB0_4:                                ;   in Loop: Header=BB0_2 Depth=1
	s_andn2_saveexec_b32 s0, s1
	s_cbranch_execz .LBB0_6
; %bb.5:                                ;   in Loop: Header=BB0_2 Depth=1
	v_cvt_f32_u32_e32 v4, s24
	s_sub_i32 s1, 0, s24
	v_mov_b32_e32 v69, v3
	v_rcp_iflag_f32_e32 v4, v4
	v_mul_f32_e32 v4, 0x4f7ffffe, v4
	v_cvt_u32_f32_e32 v4, v4
	v_mul_lo_u32 v7, s1, v4
	v_mul_hi_u32 v7, v4, v7
	v_add_nc_u32_e32 v4, v4, v7
	v_mul_hi_u32 v4, v5, v4
	v_mul_lo_u32 v7, v4, s24
	v_add_nc_u32_e32 v8, 1, v4
	v_sub_nc_u32_e32 v7, v5, v7
	v_subrev_nc_u32_e32 v9, s24, v7
	v_cmp_le_u32_e32 vcc_lo, s24, v7
	v_cndmask_b32_e32 v7, v7, v9, vcc_lo
	v_cndmask_b32_e32 v4, v4, v8, vcc_lo
	v_cmp_le_u32_e32 vcc_lo, s24, v7
	v_add_nc_u32_e32 v8, 1, v4
	v_cndmask_b32_e32 v68, v4, v8, vcc_lo
.LBB0_6:                                ;   in Loop: Header=BB0_2 Depth=1
	s_or_b32 exec_lo, exec_lo, s0
	v_mul_lo_u32 v4, v69, s24
	v_mul_lo_u32 v9, v68, s25
	s_load_dwordx2 s[0:1], s[6:7], 0x0
	v_mad_u64_u32 v[7:8], null, v68, s24, 0
	s_load_dwordx2 s[24:25], s[2:3], 0x0
	s_add_u32 s22, s22, 1
	s_addc_u32 s23, s23, 0
	s_add_u32 s2, s2, 8
	s_addc_u32 s3, s3, 0
	s_add_u32 s6, s6, 8
	v_add3_u32 v4, v8, v9, v4
	v_sub_co_u32 v5, vcc_lo, v5, v7
	s_addc_u32 s7, s7, 0
	s_add_u32 s20, s20, 8
	v_sub_co_ci_u32_e32 v4, vcc_lo, v6, v4, vcc_lo
	s_addc_u32 s21, s21, 0
	s_waitcnt lgkmcnt(0)
	v_mul_lo_u32 v6, s0, v4
	v_mul_lo_u32 v7, s1, v5
	v_mad_u64_u32 v[1:2], null, s0, v5, v[1:2]
	v_mul_lo_u32 v4, s24, v4
	v_mul_lo_u32 v8, s25, v5
	v_mad_u64_u32 v[64:65], null, s24, v5, v[64:65]
	v_cmp_ge_u64_e64 s0, s[22:23], s[14:15]
	v_add3_u32 v2, v7, v2, v6
	v_add3_u32 v65, v8, v65, v4
	s_and_b32 vcc_lo, exec_lo, s0
	s_cbranch_vccnz .LBB0_9
; %bb.7:                                ;   in Loop: Header=BB0_2 Depth=1
	v_mov_b32_e32 v5, v68
	v_mov_b32_e32 v6, v69
	s_branch .LBB0_2
.LBB0_8:
	v_mov_b32_e32 v65, v2
	v_mov_b32_e32 v69, v6
	;; [unrolled: 1-line block ×4, first 2 shown]
.LBB0_9:
	s_load_dwordx2 s[2:3], s[4:5], 0x28
	v_and_b32_e32 v3, 32, v0
	s_lshl_b64 s[4:5], s[14:15], 3
	v_and_b32_e32 v66, 31, v0
	v_cmp_ne_u32_e64 s0, 0, v3
	s_waitcnt lgkmcnt(0)
	v_cmp_gt_u64_e32 vcc_lo, s[2:3], v[68:69]
	v_cmp_le_u64_e64 s1, s[2:3], v[68:69]
	s_add_u32 s2, s18, s4
	s_addc_u32 s3, s19, s5
	s_and_saveexec_b32 s6, s1
	s_xor_b32 s1, exec_lo, s6
; %bb.10:
	v_and_b32_e32 v66, 31, v0
                                        ; implicit-def: $vgpr1_vgpr2
; %bb.11:
	s_or_saveexec_b32 s1, s1
	s_load_dwordx2 s[2:3], s[2:3], 0x0
	v_cndmask_b32_e64 v0, 0, 0x1a1, s0
	v_lshlrev_b32_e32 v80, 4, v0
	s_xor_b32 exec_lo, exec_lo, s1
	s_cbranch_execz .LBB0_15
; %bb.12:
	s_add_u32 s4, s16, s4
	s_addc_u32 s5, s17, s5
	v_lshlrev_b64 v[1:2], 4, v[1:2]
	s_load_dwordx2 s[4:5], s[4:5], 0x0
	v_lshlrev_b32_e32 v56, 4, v66
	v_or_b32_e32 v7, 0xc00, v56
	v_or_b32_e32 v8, 0xe00, v56
	;; [unrolled: 1-line block ×4, first 2 shown]
	s_waitcnt lgkmcnt(0)
	v_mul_lo_u32 v5, s5, v68
	v_mul_lo_u32 v6, s4, v69
	v_mad_u64_u32 v[3:4], null, s4, v68, 0
	s_mov_b32 s4, exec_lo
	v_add3_u32 v4, v4, v6, v5
	v_or_b32_e32 v5, 0x800, v56
	v_or_b32_e32 v6, 0xa00, v56
	v_lshlrev_b64 v[3:4], 4, v[3:4]
	v_add_co_u32 v3, s0, s8, v3
	v_add_co_ci_u32_e64 v4, s0, s9, v4, s0
	v_add_co_u32 v1, s0, v3, v1
	v_add_co_ci_u32_e64 v2, s0, v4, v2, s0
	v_or_b32_e32 v3, 0x1400, v56
	v_add_co_u32 v16, s0, v1, v56
	v_add_co_ci_u32_e64 v17, s0, 0, v2, s0
	v_add_co_u32 v20, s0, v1, v5
	v_add_co_ci_u32_e64 v21, s0, 0, v2, s0
	;; [unrolled: 2-line block ×6, first 2 shown]
	v_add_co_u32 v40, s0, v1, v38
	v_or_b32_e32 v38, 0x1600, v56
	v_add_co_ci_u32_e64 v41, s0, 0, v2, s0
	v_add_co_u32 v44, s0, v1, v3
	v_or_b32_e32 v3, 0x1800, v56
	v_add_co_ci_u32_e64 v45, s0, 0, v2, s0
	v_add_co_u32 v48, s0, v1, v38
	v_add_co_ci_u32_e64 v49, s0, 0, v2, s0
	v_add_co_u32 v52, s0, v1, v3
	v_add_co_ci_u32_e64 v53, s0, 0, v2, s0
	s_clause 0xc
	global_load_dwordx4 v[4:7], v[16:17], off
	global_load_dwordx4 v[8:11], v[16:17], off offset:512
	global_load_dwordx4 v[12:15], v[16:17], off offset:1024
	;; [unrolled: 1-line block ×3, first 2 shown]
	global_load_dwordx4 v[20:23], v[20:21], off
	global_load_dwordx4 v[24:27], v[24:25], off
	global_load_dwordx4 v[28:31], v[28:29], off
	global_load_dwordx4 v[32:35], v[32:33], off
	global_load_dwordx4 v[36:39], v[36:37], off
	global_load_dwordx4 v[40:43], v[40:41], off
	global_load_dwordx4 v[44:47], v[44:45], off
	global_load_dwordx4 v[48:51], v[48:49], off
	global_load_dwordx4 v[52:55], v[52:53], off
	v_add3_u32 v3, 0, v80, v56
	s_waitcnt vmcnt(12)
	ds_write_b128 v3, v[4:7]
	s_waitcnt vmcnt(11)
	ds_write_b128 v3, v[8:11] offset:512
	s_waitcnt vmcnt(10)
	ds_write_b128 v3, v[12:15] offset:1024
	;; [unrolled: 2-line block ×12, first 2 shown]
	v_cmpx_eq_u32_e32 31, v66
	s_cbranch_execz .LBB0_14
; %bb.13:
	v_add_co_u32 v1, s0, 0x1800, v1
	v_add_co_ci_u32_e64 v2, s0, 0, v2, s0
	v_mov_b32_e32 v66, 31
	global_load_dwordx4 v[4:7], v[1:2], off offset:512
	s_waitcnt vmcnt(0)
	ds_write_b128 v3, v[4:7] offset:6160
.LBB0_14:
	s_or_b32 exec_lo, exec_lo, s4
.LBB0_15:
	s_or_b32 exec_lo, exec_lo, s1
	v_lshl_add_u32 v78, v0, 4, 0
	v_lshlrev_b32_e32 v10, 4, v66
	s_waitcnt lgkmcnt(0)
	s_barrier
	buffer_gl0_inv
	s_add_u32 s1, s12, 0x1930
	v_add_nc_u32_e32 v79, v78, v10
	v_sub_nc_u32_e32 v11, v78, v10
	s_addc_u32 s4, s13, 0
	s_mov_b32 s5, exec_lo
	ds_read_b64 v[6:7], v79
	ds_read_b64 v[8:9], v11 offset:6656
                                        ; implicit-def: $vgpr4_vgpr5
	s_waitcnt lgkmcnt(0)
	v_add_f64 v[0:1], v[6:7], v[8:9]
	v_add_f64 v[2:3], v[6:7], -v[8:9]
	v_cmpx_ne_u32_e32 0, v66
	s_xor_b32 s5, exec_lo, s5
	s_cbranch_execz .LBB0_17
; %bb.16:
	v_mov_b32_e32 v67, 0
	v_add_f64 v[14:15], v[6:7], v[8:9]
	v_add_f64 v[16:17], v[6:7], -v[8:9]
	v_lshlrev_b64 v[0:1], 4, v[66:67]
	v_add_co_u32 v0, s0, s1, v0
	v_add_co_ci_u32_e64 v1, s0, s4, v1, s0
	global_load_dwordx4 v[2:5], v[0:1], off
	ds_read_b64 v[0:1], v11 offset:6664
	ds_read_b64 v[12:13], v79 offset:8
	s_waitcnt lgkmcnt(0)
	v_add_f64 v[6:7], v[0:1], v[12:13]
	v_add_f64 v[0:1], v[12:13], -v[0:1]
	s_waitcnt vmcnt(0)
	v_fma_f64 v[8:9], v[16:17], v[4:5], v[14:15]
	v_fma_f64 v[12:13], -v[16:17], v[4:5], v[14:15]
	v_fma_f64 v[14:15], v[6:7], v[4:5], -v[0:1]
	v_fma_f64 v[4:5], v[6:7], v[4:5], v[0:1]
	v_fma_f64 v[0:1], -v[6:7], v[2:3], v[8:9]
	v_fma_f64 v[6:7], v[6:7], v[2:3], v[12:13]
	v_fma_f64 v[8:9], v[16:17], v[2:3], v[14:15]
	;; [unrolled: 1-line block ×3, first 2 shown]
	v_mov_b32_e32 v4, v66
	v_mov_b32_e32 v5, v67
	ds_write_b128 v11, v[6:9] offset:6656
.LBB0_17:
	s_andn2_saveexec_b32 s0, s5
	s_cbranch_execz .LBB0_19
; %bb.18:
	ds_read_b128 v[4:7], v78 offset:3328
	s_waitcnt lgkmcnt(0)
	v_add_f64 v[12:13], v[4:5], v[4:5]
	v_mul_f64 v[14:15], v[6:7], -2.0
	v_mov_b32_e32 v4, 0
	v_mov_b32_e32 v5, 0
	ds_write_b128 v78, v[12:15] offset:3328
.LBB0_19:
	s_or_b32 exec_lo, exec_lo, s0
	v_lshlrev_b64 v[4:5], 4, v[4:5]
	v_or_b32_e32 v48, 0x80, v66
	v_mov_b32_e32 v49, 0
	v_or_b32_e32 v50, 0xa0, v66
	s_mov_b32 s5, exec_lo
	v_add_co_u32 v8, s0, s1, v4
	v_add_co_ci_u32_e64 v9, s0, s4, v5, s0
	v_mov_b32_e32 v51, v49
	s_clause 0x2
	global_load_dwordx4 v[4:7], v[8:9], off offset:512
	global_load_dwordx4 v[12:15], v[8:9], off offset:1024
	;; [unrolled: 1-line block ×3, first 2 shown]
	v_lshlrev_b64 v[8:9], 4, v[48:49]
	ds_write_b128 v79, v[0:3]
	ds_read_b128 v[0:3], v79 offset:512
	ds_read_b128 v[20:23], v11 offset:6144
	v_add_co_u32 v8, s0, s1, v8
	v_add_co_ci_u32_e64 v9, s0, s4, v9, s0
	global_load_dwordx4 v[24:27], v[8:9], off
	s_waitcnt lgkmcnt(0)
	v_add_f64 v[8:9], v[0:1], v[20:21]
	v_add_f64 v[28:29], v[22:23], v[2:3]
	v_add_f64 v[20:21], v[0:1], -v[20:21]
	v_add_f64 v[0:1], v[2:3], -v[22:23]
	s_waitcnt vmcnt(3)
	v_fma_f64 v[2:3], v[20:21], v[6:7], v[8:9]
	v_fma_f64 v[22:23], v[28:29], v[6:7], v[0:1]
	v_fma_f64 v[8:9], -v[20:21], v[6:7], v[8:9]
	v_fma_f64 v[30:31], v[28:29], v[6:7], -v[0:1]
	v_fma_f64 v[0:1], -v[28:29], v[4:5], v[2:3]
	v_fma_f64 v[2:3], v[20:21], v[4:5], v[22:23]
	v_fma_f64 v[6:7], v[28:29], v[4:5], v[8:9]
	;; [unrolled: 1-line block ×3, first 2 shown]
	v_lshlrev_b64 v[4:5], 4, v[50:51]
	v_or_b32_e32 v51, 0xc0, v66
	ds_write_b128 v79, v[0:3] offset:512
	ds_write_b128 v11, v[6:9] offset:6144
	v_add_co_u32 v20, s0, s1, v4
	v_add_co_ci_u32_e64 v21, s0, s4, v5, s0
	ds_read_b128 v[0:3], v79 offset:1024
	ds_read_b128 v[4:7], v11 offset:5632
	global_load_dwordx4 v[20:23], v[20:21], off
	s_waitcnt lgkmcnt(0)
	v_add_f64 v[8:9], v[0:1], v[4:5]
	v_add_f64 v[28:29], v[6:7], v[2:3]
	v_add_f64 v[30:31], v[0:1], -v[4:5]
	v_add_f64 v[0:1], v[2:3], -v[6:7]
	s_waitcnt vmcnt(3)
	v_fma_f64 v[2:3], v[30:31], v[14:15], v[8:9]
	v_fma_f64 v[4:5], v[28:29], v[14:15], v[0:1]
	v_fma_f64 v[6:7], -v[30:31], v[14:15], v[8:9]
	v_fma_f64 v[8:9], v[28:29], v[14:15], -v[0:1]
	v_fma_f64 v[0:1], -v[28:29], v[12:13], v[2:3]
	v_fma_f64 v[2:3], v[30:31], v[12:13], v[4:5]
	v_fma_f64 v[4:5], v[28:29], v[12:13], v[6:7]
	v_fma_f64 v[6:7], v[30:31], v[12:13], v[8:9]
	ds_write_b128 v79, v[0:3] offset:1024
	ds_write_b128 v11, v[4:7] offset:5632
	ds_read_b128 v[0:3], v79 offset:1536
	ds_read_b128 v[4:7], v11 offset:5120
	s_waitcnt lgkmcnt(0)
	v_add_f64 v[8:9], v[0:1], v[4:5]
	v_add_f64 v[12:13], v[6:7], v[2:3]
	v_add_f64 v[14:15], v[0:1], -v[4:5]
	v_add_f64 v[0:1], v[2:3], -v[6:7]
	s_waitcnt vmcnt(2)
	v_fma_f64 v[2:3], v[14:15], v[18:19], v[8:9]
	v_fma_f64 v[4:5], v[12:13], v[18:19], v[0:1]
	v_fma_f64 v[6:7], -v[14:15], v[18:19], v[8:9]
	v_fma_f64 v[8:9], v[12:13], v[18:19], -v[0:1]
	v_fma_f64 v[0:1], -v[12:13], v[16:17], v[2:3]
	v_fma_f64 v[2:3], v[14:15], v[16:17], v[4:5]
	v_fma_f64 v[4:5], v[12:13], v[16:17], v[6:7]
	v_fma_f64 v[6:7], v[14:15], v[16:17], v[8:9]
	ds_write_b128 v79, v[0:3] offset:1536
	ds_write_b128 v11, v[4:7] offset:5120
	ds_read_b128 v[0:3], v79 offset:2048
	ds_read_b128 v[4:7], v11 offset:4608
	;; [unrolled: 18-line block ×3, first 2 shown]
	s_waitcnt lgkmcnt(0)
	v_add_f64 v[8:9], v[0:1], v[4:5]
	v_add_f64 v[12:13], v[6:7], v[2:3]
	v_add_f64 v[14:15], v[0:1], -v[4:5]
	v_add_f64 v[0:1], v[2:3], -v[6:7]
	s_waitcnt vmcnt(0)
	v_fma_f64 v[2:3], v[14:15], v[22:23], v[8:9]
	v_fma_f64 v[4:5], v[12:13], v[22:23], v[0:1]
	v_fma_f64 v[6:7], -v[14:15], v[22:23], v[8:9]
	v_fma_f64 v[8:9], v[12:13], v[22:23], -v[0:1]
	v_fma_f64 v[0:1], -v[12:13], v[20:21], v[2:3]
	v_fma_f64 v[2:3], v[14:15], v[20:21], v[4:5]
	v_fma_f64 v[4:5], v[12:13], v[20:21], v[6:7]
	;; [unrolled: 1-line block ×3, first 2 shown]
	ds_write_b128 v79, v[0:3] offset:2560
	ds_write_b128 v11, v[4:7] offset:4096
	v_cmpx_gt_u32_e32 0xd0, v51
	s_cbranch_execz .LBB0_21
; %bb.20:
	v_mov_b32_e32 v52, v49
	v_lshlrev_b64 v[0:1], 4, v[51:52]
	v_add_co_u32 v0, s0, s1, v0
	v_add_co_ci_u32_e64 v1, s0, s4, v1, s0
	global_load_dwordx4 v[0:3], v[0:1], off
	ds_read_b128 v[4:7], v79 offset:3072
	ds_read_b128 v[12:15], v11 offset:3584
	s_waitcnt lgkmcnt(0)
	v_add_f64 v[8:9], v[4:5], v[12:13]
	v_add_f64 v[16:17], v[14:15], v[6:7]
	v_add_f64 v[12:13], v[4:5], -v[12:13]
	v_add_f64 v[4:5], v[6:7], -v[14:15]
	s_waitcnt vmcnt(0)
	v_fma_f64 v[6:7], v[12:13], v[2:3], v[8:9]
	v_fma_f64 v[14:15], v[16:17], v[2:3], v[4:5]
	v_fma_f64 v[8:9], -v[12:13], v[2:3], v[8:9]
	v_fma_f64 v[18:19], v[16:17], v[2:3], -v[4:5]
	v_fma_f64 v[2:3], -v[16:17], v[0:1], v[6:7]
	v_fma_f64 v[4:5], v[12:13], v[0:1], v[14:15]
	v_fma_f64 v[6:7], v[16:17], v[0:1], v[8:9]
	;; [unrolled: 1-line block ×3, first 2 shown]
	ds_write_b128 v79, v[2:5] offset:3072
	ds_write_b128 v11, v[6:9] offset:3584
.LBB0_21:
	s_or_b32 exec_lo, exec_lo, s5
	v_add3_u32 v67, 0, v10, v80
	s_waitcnt lgkmcnt(0)
	s_barrier
	buffer_gl0_inv
	s_barrier
	buffer_gl0_inv
	ds_read_b128 v[0:3], v79
	ds_read_b128 v[12:15], v67 offset:512
	ds_read_b128 v[20:23], v67 offset:1024
	;; [unrolled: 1-line block ×3, first 2 shown]
	s_mov_b32 s0, 0x4267c47c
	s_mov_b32 s4, 0xe00740e9
	;; [unrolled: 1-line block ×18, first 2 shown]
	s_waitcnt lgkmcnt(2)
	v_add_f64 v[4:5], v[0:1], v[12:13]
	v_add_f64 v[6:7], v[2:3], v[14:15]
	s_mov_b32 s19, 0xbfedeba7
	s_mov_b32 s29, 0xbfd6b1d8
	;; [unrolled: 1-line block ×18, first 2 shown]
	v_mad_u32_u24 v49, 0xc0, v66, v67
	s_waitcnt lgkmcnt(1)
	v_add_f64 v[4:5], v[4:5], v[20:21]
	v_add_f64 v[6:7], v[6:7], v[22:23]
	s_waitcnt lgkmcnt(0)
	v_add_f64 v[24:25], v[4:5], v[16:17]
	v_add_f64 v[26:27], v[6:7], v[18:19]
	ds_read_b128 v[8:11], v67 offset:2048
	ds_read_b128 v[4:7], v67 offset:2560
	;; [unrolled: 1-line block ×9, first 2 shown]
	s_waitcnt lgkmcnt(0)
	s_barrier
	buffer_gl0_inv
	v_add_f64 v[24:25], v[24:25], v[8:9]
	v_add_f64 v[26:27], v[26:27], v[10:11]
	v_add_f64 v[44:45], v[14:15], -v[83:84]
	v_add_f64 v[101:102], v[14:15], v[83:84]
	v_add_f64 v[14:15], v[22:23], v[87:88]
	;; [unrolled: 1-line block ×3, first 2 shown]
	v_add_f64 v[107:108], v[12:13], -v[81:82]
	v_add_f64 v[74:75], v[18:19], v[95:96]
	v_add_f64 v[76:77], v[18:19], -v[95:96]
	v_add_f64 v[12:13], v[20:21], -v[85:86]
	v_add_f64 v[34:35], v[10:11], v[40:41]
	v_add_f64 v[46:47], v[10:11], -v[40:41]
	v_add_f64 v[32:33], v[16:17], v[93:94]
	;; [unrolled: 2-line block ×3, first 2 shown]
	v_add_f64 v[24:25], v[24:25], v[4:5]
	v_add_f64 v[26:27], v[26:27], v[6:7]
	v_mul_f64 v[105:106], v[44:45], s[0:1]
	v_mul_f64 v[109:110], v[101:102], s[4:5]
	;; [unrolled: 1-line block ×9, first 2 shown]
	v_add_f64 v[28:29], v[24:25], v[54:55]
	v_add_f64 v[26:27], v[26:27], v[56:57]
	v_add_f64 v[24:25], v[22:23], -v[87:88]
	v_add_f64 v[22:23], v[20:21], v[85:86]
	v_fma_f64 v[18:19], v[103:104], s[4:5], v[105:106]
	v_mul_f64 v[20:21], v[14:15], s[14:15]
	v_fma_f64 v[42:43], v[107:108], s[16:17], v[109:110]
	v_fma_f64 v[147:148], v[107:108], s[38:39], v[121:122]
	;; [unrolled: 1-line block ×3, first 2 shown]
	v_fma_f64 v[105:106], v[103:104], s[4:5], -v[105:106]
	v_fma_f64 v[109:110], v[107:108], s[0:1], v[109:110]
	v_fma_f64 v[145:146], v[103:104], s[30:31], v[119:120]
	;; [unrolled: 1-line block ×3, first 2 shown]
	v_add_f64 v[28:29], v[28:29], v[89:90]
	v_add_f64 v[30:31], v[26:27], v[91:92]
	v_mul_f64 v[26:27], v[24:25], s[8:9]
	v_mul_f64 v[125:126], v[24:25], s[18:19]
	v_mul_f64 v[129:130], v[24:25], s[20:21]
	v_add_f64 v[62:63], v[2:3], v[42:43]
	v_add_f64 v[42:43], v[8:9], v[38:39]
	;; [unrolled: 1-line block ×8, first 2 shown]
	v_add_f64 v[28:29], v[16:17], -v[93:94]
	v_mul_f64 v[30:31], v[74:75], s[22:23]
	v_fma_f64 v[10:11], v[22:23], s[14:15], v[26:27]
	v_add_f64 v[16:17], v[0:1], v[18:19]
	v_fma_f64 v[18:19], v[12:13], s[26:27], v[20:21]
	v_fma_f64 v[149:150], v[22:23], s[30:31], v[129:130]
	v_add_f64 v[111:112], v[52:53], v[38:39]
	v_add_f64 v[113:114], v[58:59], v[40:41]
	v_add_f64 v[52:53], v[8:9], -v[38:39]
	v_mul_f64 v[58:59], v[46:47], s[18:19]
	v_fma_f64 v[115:116], v[28:29], s[34:35], v[30:31]
	v_add_f64 v[99:100], v[10:11], v[16:17]
	v_add_f64 v[117:118], v[18:19], v[62:63]
	;; [unrolled: 1-line block ×3, first 2 shown]
	v_add_f64 v[18:19], v[4:5], -v[97:98]
	v_add_f64 v[40:41], v[56:57], -v[91:92]
	v_add_f64 v[38:39], v[56:57], v[91:92]
	v_mul_f64 v[4:5], v[44:45], s[8:9]
	v_mul_f64 v[56:57], v[72:73], s[24:25]
	;; [unrolled: 1-line block ×3, first 2 shown]
	v_add_f64 v[8:9], v[54:55], v[89:90]
	v_add_f64 v[10:11], v[54:55], -v[89:90]
	v_mul_f64 v[89:90], v[44:45], s[6:7]
	v_mul_f64 v[91:92], v[44:45], s[18:19]
	;; [unrolled: 1-line block ×3, first 2 shown]
	v_add_f64 v[93:94], v[111:112], v[93:94]
	v_add_f64 v[95:96], v[113:114], v[95:96]
	v_mul_f64 v[111:112], v[101:102], s[14:15]
	v_fma_f64 v[123:124], v[42:43], s[28:29], v[58:59]
	v_mul_f64 v[113:114], v[101:102], s[22:23]
	v_add_f64 v[6:7], v[6:7], v[99:100]
	v_fma_f64 v[99:100], v[52:53], s[38:39], v[60:61]
	v_add_f64 v[115:116], v[115:116], v[117:118]
	v_mul_f64 v[117:118], v[101:102], s[36:37]
	v_mul_f64 v[101:102], v[101:102], s[30:31]
	v_mul_f64 v[44:45], v[40:41], s[20:21]
	v_mul_f64 v[54:55], v[38:39], s[30:31]
	v_fma_f64 v[135:136], v[103:104], s[14:15], v[4:5]
	v_fma_f64 v[139:140], v[16:17], s[36:37], v[56:57]
	;; [unrolled: 1-line block ×4, first 2 shown]
	v_fma_f64 v[91:92], v[103:104], s[28:29], -v[91:92]
	v_add_f64 v[85:86], v[93:94], v[85:86]
	v_add_f64 v[87:88], v[95:96], v[87:88]
	v_fma_f64 v[93:94], v[103:104], s[14:15], -v[4:5]
	v_fma_f64 v[143:144], v[107:108], s[26:27], v[111:112]
	v_fma_f64 v[111:112], v[107:108], s[8:9], v[111:112]
	v_add_f64 v[123:124], v[123:124], v[6:7]
	v_fma_f64 v[95:96], v[103:104], s[22:23], v[89:90]
	v_add_f64 v[99:100], v[99:100], v[115:116]
	v_fma_f64 v[89:90], v[103:104], s[22:23], -v[89:90]
	v_fma_f64 v[115:116], v[103:104], s[36:37], v[97:98]
	v_fma_f64 v[97:98], v[103:104], s[36:37], -v[97:98]
	v_fma_f64 v[103:104], v[103:104], s[30:31], -v[119:120]
	v_fma_f64 v[119:120], v[107:108], s[34:35], v[113:114]
	v_fma_f64 v[113:114], v[107:108], s[6:7], v[113:114]
	v_add_f64 v[135:136], v[0:1], v[135:136]
	v_add_f64 v[137:138], v[0:1], v[137:138]
	;; [unrolled: 1-line block ×5, first 2 shown]
	v_fma_f64 v[81:82], v[107:108], s[42:43], v[117:118]
	v_fma_f64 v[83:84], v[107:108], s[24:25], v[117:118]
	;; [unrolled: 1-line block ×6, first 2 shown]
	v_add_f64 v[117:118], v[139:140], v[123:124]
	v_fma_f64 v[123:124], v[22:23], s[28:29], v[125:126]
	v_add_f64 v[99:100], v[141:142], v[99:100]
	v_fma_f64 v[139:140], v[12:13], s[38:39], v[127:128]
	v_fma_f64 v[125:126], v[22:23], s[28:29], -v[125:126]
	v_fma_f64 v[127:128], v[12:13], s[18:19], v[127:128]
	v_add_f64 v[141:142], v[2:3], v[143:144]
	v_add_f64 v[93:94], v[0:1], v[93:94]
	;; [unrolled: 1-line block ×4, first 2 shown]
	v_mul_f64 v[147:148], v[74:75], s[30:31]
	v_add_f64 v[95:96], v[0:1], v[95:96]
	v_add_f64 v[119:120], v[2:3], v[119:120]
	;; [unrolled: 1-line block ×12, first 2 shown]
	v_fma_f64 v[101:102], v[12:13], s[40:41], v[131:132]
	v_add_f64 v[2:3], v[107:108], v[99:100]
	v_mul_f64 v[99:100], v[76:77], s[38:39]
	v_fma_f64 v[107:108], v[22:23], s[30:31], -v[129:130]
	v_add_f64 v[117:118], v[123:124], v[135:136]
	v_mul_f64 v[123:124], v[74:75], s[28:29]
	v_fma_f64 v[129:130], v[12:13], s[20:21], v[131:132]
	v_add_f64 v[131:132], v[139:140], v[141:142]
	v_fma_f64 v[135:136], v[32:33], s[30:31], v[133:134]
	v_add_f64 v[93:94], v[125:126], v[93:94]
	v_mul_f64 v[125:126], v[46:47], s[42:43]
	v_add_f64 v[111:112], v[127:128], v[111:112]
	v_fma_f64 v[127:128], v[28:29], s[40:41], v[147:148]
	v_fma_f64 v[133:134], v[32:33], s[30:31], -v[133:134]
	v_mul_f64 v[139:140], v[34:35], s[36:37]
	v_fma_f64 v[141:142], v[28:29], s[20:21], v[147:148]
	v_add_f64 v[95:96], v[149:150], v[95:96]
	v_add_f64 v[101:102], v[101:102], v[119:120]
	v_fma_f64 v[119:120], v[32:33], s[28:29], v[99:100]
	v_add_f64 v[89:90], v[107:108], v[89:90]
	v_mul_f64 v[107:108], v[46:47], s[16:17]
	v_fma_f64 v[99:100], v[32:33], s[28:29], -v[99:100]
	v_add_f64 v[113:114], v[129:130], v[113:114]
	v_fma_f64 v[129:130], v[28:29], s[18:19], v[123:124]
	v_add_f64 v[117:118], v[135:136], v[117:118]
	v_mul_f64 v[135:136], v[34:35], s[4:5]
	v_fma_f64 v[123:124], v[28:29], s[38:39], v[123:124]
	v_add_f64 v[127:128], v[127:128], v[131:132]
	v_fma_f64 v[131:132], v[42:43], s[36:37], v[125:126]
	v_add_f64 v[93:94], v[133:134], v[93:94]
	;; [unrolled: 2-line block ×3, first 2 shown]
	v_mul_f64 v[141:142], v[72:73], s[34:35]
	v_fma_f64 v[125:126], v[42:43], s[36:37], -v[125:126]
	v_fma_f64 v[139:140], v[52:53], s[42:43], v[139:140]
	v_add_f64 v[95:96], v[119:120], v[95:96]
	v_mul_f64 v[119:120], v[70:71], s[22:23]
	v_add_f64 v[89:90], v[99:100], v[89:90]
	v_mul_f64 v[99:100], v[72:73], s[8:9]
	v_add_f64 v[101:102], v[129:130], v[101:102]
	v_fma_f64 v[129:130], v[42:43], s[4:5], v[107:108]
	v_fma_f64 v[107:108], v[42:43], s[4:5], -v[107:108]
	v_add_f64 v[113:114], v[123:124], v[113:114]
	v_fma_f64 v[123:124], v[52:53], s[0:1], v[135:136]
	v_fma_f64 v[135:136], v[52:53], s[16:17], v[135:136]
	v_add_f64 v[117:118], v[131:132], v[117:118]
	v_mul_f64 v[131:132], v[24:25], s[42:43]
	v_add_f64 v[127:128], v[133:134], v[127:128]
	v_fma_f64 v[133:134], v[16:17], s[22:23], v[141:142]
	v_add_f64 v[93:94], v[125:126], v[93:94]
	v_mul_f64 v[125:126], v[70:71], s[14:15]
	v_add_f64 v[111:112], v[139:140], v[111:112]
	v_fma_f64 v[141:142], v[16:17], s[22:23], -v[141:142]
	v_fma_f64 v[139:140], v[18:19], s[6:7], v[119:120]
	v_fma_f64 v[119:120], v[18:19], s[34:35], v[119:120]
	v_add_f64 v[95:96], v[129:130], v[95:96]
	v_mul_f64 v[129:130], v[14:15], s[36:37]
	v_add_f64 v[89:90], v[107:108], v[89:90]
	v_add_f64 v[101:102], v[123:124], v[101:102]
	v_fma_f64 v[123:124], v[16:17], s[14:15], v[99:100]
	v_fma_f64 v[99:100], v[16:17], s[14:15], -v[99:100]
	v_fma_f64 v[107:108], v[22:23], s[36:37], v[131:132]
	v_add_f64 v[113:114], v[135:136], v[113:114]
	v_fma_f64 v[131:132], v[22:23], s[36:37], -v[131:132]
	v_add_f64 v[117:118], v[133:134], v[117:118]
	v_mul_f64 v[133:134], v[76:77], s[16:17]
	v_add_f64 v[93:94], v[141:142], v[93:94]
	v_mul_f64 v[141:142], v[46:47], s[6:7]
	v_add_f64 v[127:128], v[139:140], v[127:128]
	v_fma_f64 v[139:140], v[18:19], s[26:27], v[125:126]
	v_add_f64 v[111:112], v[119:120], v[111:112]
	v_fma_f64 v[125:126], v[18:19], s[8:9], v[125:126]
	v_fma_f64 v[119:120], v[12:13], s[24:25], v[129:130]
	;; [unrolled: 1-line block ×3, first 2 shown]
	v_add_f64 v[95:96], v[123:124], v[95:96]
	v_mul_f64 v[123:124], v[74:75], s[4:5]
	v_add_f64 v[107:108], v[107:108], v[137:138]
	v_add_f64 v[89:90], v[99:100], v[89:90]
	v_mul_f64 v[99:100], v[24:25], s[34:35]
	v_add_f64 v[91:92], v[131:132], v[91:92]
	v_fma_f64 v[137:138], v[32:33], s[4:5], v[133:134]
	v_fma_f64 v[131:132], v[32:33], s[4:5], -v[133:134]
	v_mul_f64 v[133:134], v[76:77], s[8:9]
	v_mul_f64 v[24:25], v[24:25], s[16:17]
	;; [unrolled: 1-line block ×3, first 2 shown]
	v_add_f64 v[101:102], v[139:140], v[101:102]
	v_mul_f64 v[139:140], v[34:35], s[22:23]
	v_add_f64 v[113:114], v[125:126], v[113:114]
	v_add_f64 v[119:120], v[119:120], v[143:144]
	v_mul_f64 v[143:144], v[72:73], s[40:41]
	v_add_f64 v[121:122], v[129:130], v[121:122]
	v_fma_f64 v[135:136], v[28:29], s[0:1], v[123:124]
	v_fma_f64 v[123:124], v[28:29], s[16:17], v[123:124]
	;; [unrolled: 1-line block ×3, first 2 shown]
	v_fma_f64 v[99:100], v[22:23], s[22:23], -v[99:100]
	v_add_f64 v[107:108], v[137:138], v[107:108]
	v_fma_f64 v[137:138], v[42:43], s[22:23], v[141:142]
	v_add_f64 v[91:92], v[131:132], v[91:92]
	v_mul_f64 v[131:132], v[46:47], s[40:41]
	v_mul_f64 v[46:47], v[46:47], s[26:27]
	v_fma_f64 v[141:142], v[42:43], s[22:23], -v[141:142]
	v_fma_f64 v[125:126], v[52:53], s[34:35], v[139:140]
	v_fma_f64 v[139:140], v[52:53], s[6:7], v[139:140]
	v_add_f64 v[119:120], v[135:136], v[119:120]
	v_fma_f64 v[135:136], v[16:17], s[30:31], v[143:144]
	v_add_f64 v[121:122], v[123:124], v[121:122]
	v_add_f64 v[115:116], v[129:130], v[115:116]
	v_fma_f64 v[123:124], v[32:33], s[14:15], v[133:134]
	v_mul_f64 v[129:130], v[74:75], s[14:15]
	v_add_f64 v[107:108], v[137:138], v[107:108]
	v_mul_f64 v[137:138], v[14:15], s[22:23]
	v_mul_f64 v[14:15], v[14:15], s[4:5]
	v_add_f64 v[97:98], v[99:100], v[97:98]
	v_fma_f64 v[133:134], v[32:33], s[14:15], -v[133:134]
	v_mul_f64 v[74:75], v[74:75], s[36:37]
	v_fma_f64 v[99:100], v[42:43], s[30:31], v[131:132]
	v_fma_f64 v[131:132], v[42:43], s[30:31], -v[131:132]
	v_add_f64 v[91:92], v[141:142], v[91:92]
	v_mul_f64 v[141:142], v[40:41], s[16:17]
	v_add_f64 v[119:120], v[125:126], v[119:120]
	v_add_f64 v[121:122], v[139:140], v[121:122]
	;; [unrolled: 1-line block ×3, first 2 shown]
	v_fma_f64 v[123:124], v[28:29], s[26:27], v[129:130]
	v_add_f64 v[107:108], v[135:136], v[107:108]
	v_fma_f64 v[125:126], v[12:13], s[6:7], v[137:138]
	v_mul_f64 v[135:136], v[70:71], s[30:31]
	v_fma_f64 v[137:138], v[12:13], s[34:35], v[137:138]
	v_fma_f64 v[139:140], v[12:13], s[0:1], v[14:15]
	;; [unrolled: 1-line block ×4, first 2 shown]
	v_add_f64 v[97:98], v[133:134], v[97:98]
	v_fma_f64 v[129:130], v[28:29], s[8:9], v[129:130]
	v_fma_f64 v[133:134], v[32:33], s[36:37], v[76:77]
	v_fma_f64 v[76:77], v[32:33], s[36:37], -v[76:77]
	v_fma_f64 v[32:33], v[32:33], s[22:23], -v[36:37]
	v_mul_f64 v[20:21], v[40:41], s[24:25]
	v_mul_f64 v[36:37], v[40:41], s[26:27]
	v_add_f64 v[99:100], v[99:100], v[115:116]
	v_mul_f64 v[115:116], v[38:39], s[36:37]
	v_add_f64 v[81:82], v[125:126], v[81:82]
	v_fma_f64 v[125:126], v[18:19], s[20:21], v[135:136]
	v_add_f64 v[83:84], v[137:138], v[83:84]
	v_add_f64 v[85:86], v[139:140], v[85:86]
	;; [unrolled: 1-line block ×5, first 2 shown]
	v_mul_f64 v[131:132], v[38:39], s[28:29]
	v_fma_f64 v[135:136], v[18:19], s[40:41], v[135:136]
	v_fma_f64 v[139:140], v[16:17], s[30:31], -v[143:144]
	v_fma_f64 v[87:88], v[8:9], s[4:5], v[141:142]
	v_fma_f64 v[109:110], v[8:9], s[36:37], v[20:21]
	v_fma_f64 v[20:21], v[8:9], s[36:37], -v[20:21]
	v_fma_f64 v[137:138], v[8:9], s[4:5], -v[141:142]
	v_add_f64 v[81:82], v[123:124], v[81:82]
	v_add_f64 v[119:120], v[125:126], v[119:120]
	v_fma_f64 v[125:126], v[22:23], s[4:5], v[24:25]
	v_fma_f64 v[24:25], v[22:23], s[4:5], -v[24:25]
	v_fma_f64 v[22:23], v[22:23], s[14:15], -v[26:27]
	v_add_f64 v[83:84], v[129:130], v[83:84]
	v_mul_f64 v[26:27], v[38:39], s[4:5]
	v_add_f64 v[20:21], v[20:21], v[89:90]
	v_add_f64 v[123:124], v[125:126], v[145:146]
	v_mul_f64 v[125:126], v[34:35], s[30:31]
	v_add_f64 v[24:25], v[24:25], v[103:104]
	v_fma_f64 v[103:104], v[28:29], s[42:43], v[74:75]
	v_fma_f64 v[74:75], v[28:29], s[24:25], v[74:75]
	v_mul_f64 v[34:35], v[34:35], s[14:15]
	v_add_f64 v[22:23], v[22:23], v[105:106]
	v_fma_f64 v[28:29], v[28:29], s[6:7], v[30:31]
	v_fma_f64 v[105:106], v[10:11], s[0:1], v[26:27]
	v_fma_f64 v[30:31], v[10:11], s[42:43], v[115:116]
	v_fma_f64 v[26:27], v[10:11], s[16:17], v[26:27]
	v_fma_f64 v[115:116], v[10:11], s[24:25], v[115:116]
	v_add_f64 v[123:124], v[133:134], v[123:124]
	v_fma_f64 v[129:130], v[52:53], s[20:21], v[125:126]
	v_mul_f64 v[133:134], v[72:73], s[16:17]
	v_add_f64 v[85:86], v[103:104], v[85:86]
	v_mul_f64 v[103:104], v[70:71], s[4:5]
	v_fma_f64 v[125:126], v[52:53], s[40:41], v[125:126]
	v_add_f64 v[24:25], v[76:77], v[24:25]
	v_fma_f64 v[76:77], v[42:43], s[14:15], v[46:47]
	v_add_f64 v[14:15], v[74:75], v[14:15]
	v_fma_f64 v[74:75], v[52:53], s[8:9], v[34:35]
	v_mul_f64 v[72:73], v[72:73], s[18:19]
	v_mul_f64 v[70:71], v[70:71], s[28:29]
	v_fma_f64 v[46:47], v[42:43], s[14:15], -v[46:47]
	v_fma_f64 v[34:35], v[52:53], s[26:27], v[34:35]
	v_add_f64 v[22:23], v[32:33], v[22:23]
	v_add_f64 v[12:13], v[28:29], v[12:13]
	v_fma_f64 v[42:43], v[42:43], s[28:29], -v[58:59]
	v_fma_f64 v[52:53], v[52:53], s[18:19], v[60:61]
	v_mul_f64 v[28:29], v[38:39], s[14:15]
	v_mul_f64 v[38:39], v[38:39], s[22:23]
	v_fma_f64 v[32:33], v[8:9], s[14:15], v[36:37]
	v_fma_f64 v[36:37], v[8:9], s[14:15], -v[36:37]
	v_add_f64 v[58:59], v[129:130], v[81:82]
	v_fma_f64 v[60:61], v[16:17], s[4:5], v[133:134]
	v_mul_f64 v[129:130], v[40:41], s[18:19]
	v_fma_f64 v[81:82], v[18:19], s[0:1], v[103:104]
	v_add_f64 v[83:84], v[125:126], v[83:84]
	v_fma_f64 v[125:126], v[16:17], s[4:5], -v[133:134]
	v_add_f64 v[76:77], v[76:77], v[123:124]
	v_mul_f64 v[40:41], v[40:41], s[34:35]
	v_add_f64 v[74:75], v[74:75], v[85:86]
	v_fma_f64 v[85:86], v[16:17], s[28:29], v[72:73]
	v_fma_f64 v[123:124], v[18:19], s[38:39], v[70:71]
	;; [unrolled: 1-line block ×3, first 2 shown]
	v_add_f64 v[24:25], v[46:47], v[24:25]
	v_add_f64 v[14:15], v[34:35], v[14:15]
	v_fma_f64 v[34:35], v[16:17], s[28:29], -v[72:73]
	v_fma_f64 v[46:47], v[18:19], s[18:19], v[70:71]
	v_add_f64 v[22:23], v[42:43], v[22:23]
	v_add_f64 v[12:13], v[52:53], v[12:13]
	v_fma_f64 v[16:17], v[16:17], s[36:37], -v[56:57]
	v_fma_f64 v[18:19], v[18:19], s[24:25], v[62:63]
	v_fma_f64 v[70:71], v[10:11], s[8:9], v[28:29]
	;; [unrolled: 1-line block ×3, first 2 shown]
	v_add_f64 v[56:57], v[135:136], v[121:122]
	v_add_f64 v[52:53], v[60:61], v[99:100]
	v_fma_f64 v[60:61], v[8:9], s[28:29], v[129:130]
	v_add_f64 v[58:59], v[81:82], v[58:59]
	v_add_f64 v[42:43], v[139:140], v[91:92]
	;; [unrolled: 1-line block ×3, first 2 shown]
	v_fma_f64 v[97:98], v[10:11], s[6:7], v[38:39]
	v_fma_f64 v[121:122], v[8:9], s[22:23], -v[40:41]
	v_fma_f64 v[38:39], v[10:11], s[34:35], v[38:39]
	v_add_f64 v[76:77], v[85:86], v[76:77]
	v_add_f64 v[74:75], v[123:124], v[74:75]
	v_fma_f64 v[85:86], v[8:9], s[22:23], v[40:41]
	v_add_f64 v[83:84], v[103:104], v[83:84]
	v_fma_f64 v[91:92], v[8:9], s[28:29], -v[129:130]
	v_add_f64 v[99:100], v[34:35], v[24:25]
	v_add_f64 v[103:104], v[46:47], v[14:15]
	v_fma_f64 v[123:124], v[10:11], s[18:19], v[131:132]
	v_fma_f64 v[62:63], v[10:11], s[26:27], v[28:29]
	v_add_f64 v[125:126], v[16:17], v[22:23]
	v_add_f64 v[129:130], v[18:19], v[12:13]
	v_fma_f64 v[131:132], v[8:9], s[30:31], -v[44:45]
	v_fma_f64 v[133:134], v[10:11], s[20:21], v[54:55]
	v_add_f64 v[8:9], v[87:88], v[117:118]
	v_add_f64 v[10:11], v[105:106], v[127:128]
	;; [unrolled: 1-line block ×19, first 2 shown]
	v_cmp_gt_u32_e64 s0, 16, v66
	v_add_f64 v[36:37], v[131:132], v[125:126]
	v_add_f64 v[38:39], v[133:134], v[129:130]
	ds_write_b128 v49, v[4:7]
	ds_write_b128 v49, v[0:3] offset:16
	ds_write_b128 v49, v[8:11] offset:32
	;; [unrolled: 1-line block ×12, first 2 shown]
	s_waitcnt lgkmcnt(0)
	s_barrier
	buffer_gl0_inv
	ds_read_b128 v[0:3], v79
	ds_read_b128 v[16:19], v67 offset:512
	ds_read_b128 v[8:11], v67 offset:3328
	;; [unrolled: 1-line block ×11, first 2 shown]
                                        ; implicit-def: $vgpr46_vgpr47
	s_and_saveexec_b32 s1, s0
	s_cbranch_execz .LBB0_23
; %bb.22:
	ds_read_b128 v[36:39], v67 offset:3072
	ds_read_b128 v[44:47], v67 offset:6400
.LBB0_23:
	s_or_b32 exec_lo, exec_lo, s1
	v_or_b32_e32 v49, 32, v66
	v_and_b32_e32 v60, 0xff, v66
	v_or_b32_e32 v62, 64, v66
	v_or_b32_e32 v63, 0x60, v66
	v_and_b32_e32 v72, 0xff, v50
	v_and_b32_e32 v70, 0xff, v49
	v_mul_lo_u16 v60, 0x4f, v60
	v_and_b32_e32 v74, 0xff, v62
	v_and_b32_e32 v75, 0xff, v63
	;; [unrolled: 1-line block ×3, first 2 shown]
	v_mul_lo_u16 v70, 0x4f, v70
	v_lshrrev_b16 v109, 10, v60
	v_mul_lo_u16 v60, 0x4f, v72
	v_mul_lo_u16 v72, 0x4f, v74
	v_and_b32_e32 v73, 0xff, v51
	v_lshrrev_b16 v110, 10, v70
	v_mul_lo_u16 v75, 0x4f, v75
	v_mul_lo_u16 v71, 0x4f, v71
	v_mov_b32_e32 v61, 4
	v_lshrrev_b16 v113, 10, v72
	v_mul_lo_u16 v74, v110, 13
	v_mul_lo_u16 v70, 0x4f, v73
	v_lshrrev_b16 v114, 10, v75
	v_lshrrev_b16 v111, 10, v71
	v_lshrrev_b16 v112, 10, v60
	v_sub_nc_u16 v49, v49, v74
	v_lshrrev_b16 v60, 10, v70
	v_mul_lo_u16 v82, v114, 13
	v_mul_lo_u16 v73, v109, 13
	v_mul_lo_u16 v81, v111, 13
	v_lshlrev_b32_sdwa v116, v61, v49 dst_sel:DWORD dst_unused:UNUSED_PAD src0_sel:DWORD src1_sel:BYTE_0
	v_mul_lo_u16 v49, v113, 13
	v_sub_nc_u16 v63, v63, v82
	v_mul_lo_u16 v82, v60, 13
	v_sub_nc_u16 v71, v66, v73
	v_sub_nc_u16 v48, v48, v81
	;; [unrolled: 1-line block ×3, first 2 shown]
	v_mul_lo_u16 v62, v112, 13
	v_lshlrev_b32_sdwa v118, v61, v63 dst_sel:DWORD dst_unused:UNUSED_PAD src0_sel:DWORD src1_sel:BYTE_0
	v_sub_nc_u16 v63, v51, v82
	v_lshlrev_b32_sdwa v115, v61, v71 dst_sel:DWORD dst_unused:UNUSED_PAD src0_sel:DWORD src1_sel:BYTE_0
	v_lshlrev_b32_sdwa v117, v61, v49 dst_sel:DWORD dst_unused:UNUSED_PAD src0_sel:DWORD src1_sel:BYTE_0
	v_sub_nc_u16 v62, v50, v62
	v_lshlrev_b32_sdwa v119, v61, v48 dst_sel:DWORD dst_unused:UNUSED_PAD src0_sel:DWORD src1_sel:BYTE_0
	s_clause 0x3
	global_load_dwordx4 v[70:73], v115, s[12:13]
	global_load_dwordx4 v[74:77], v116, s[12:13]
	;; [unrolled: 1-line block ×4, first 2 shown]
	v_lshlrev_b32_sdwa v120, v61, v62 dst_sel:DWORD dst_unused:UNUSED_PAD src0_sel:DWORD src1_sel:BYTE_0
	v_lshlrev_b32_sdwa v61, v61, v63 dst_sel:DWORD dst_unused:UNUSED_PAD src0_sel:DWORD src1_sel:BYTE_0
	s_clause 0x2
	global_load_dwordx4 v[85:88], v119, s[12:13]
	global_load_dwordx4 v[89:92], v120, s[12:13]
	;; [unrolled: 1-line block ×3, first 2 shown]
	s_waitcnt vmcnt(0) lgkmcnt(0)
	s_barrier
	buffer_gl0_inv
	v_mul_f64 v[62:63], v[10:11], v[72:73]
	v_mul_f64 v[72:73], v[8:9], v[72:73]
	;; [unrolled: 1-line block ×14, first 2 shown]
	v_fma_f64 v[8:9], v[8:9], v[70:71], v[62:63]
	v_fma_f64 v[10:11], v[10:11], v[70:71], -v[72:73]
	v_fma_f64 v[62:63], v[4:5], v[74:75], v[97:98]
	v_fma_f64 v[70:71], v[6:7], v[74:75], -v[76:77]
	;; [unrolled: 2-line block ×7, first 2 shown]
	v_and_b32_e32 v4, 0xffff, v109
	v_and_b32_e32 v76, 0xffff, v111
	;; [unrolled: 1-line block ×3, first 2 shown]
	v_mad_u32_u24 v81, 0x1a0, v4, 0
	v_add_f64 v[4:5], v[0:1], -v[8:9]
	v_add_f64 v[6:7], v[2:3], -v[10:11]
	;; [unrolled: 1-line block ×14, first 2 shown]
	v_and_b32_e32 v44, 0xffff, v110
	v_and_b32_e32 v45, 0xffff, v113
	v_and_b32_e32 v46, 0xffff, v114
	v_mad_u32_u24 v62, 0x1a0, v76, 0
	v_mad_u32_u24 v63, 0x1a0, v77, 0
	;; [unrolled: 1-line block ×5, first 2 shown]
	v_fma_f64 v[0:1], v[0:1], 2.0, -v[4:5]
	v_fma_f64 v[2:3], v[2:3], 2.0, -v[6:7]
	;; [unrolled: 1-line block ×14, first 2 shown]
	v_add3_u32 v56, v81, v115, v80
	v_add3_u32 v59, v70, v116, v80
	;; [unrolled: 1-line block ×6, first 2 shown]
	ds_write_b128 v56, v[4:7] offset:208
	ds_write_b128 v56, v[0:3]
	ds_write_b128 v59, v[8:11] offset:208
	ds_write_b128 v59, v[44:47]
	ds_write_b128 v62, v[16:19]
	ds_write_b128 v62, v[12:15] offset:208
	ds_write_b128 v63, v[32:35]
	ds_write_b128 v63, v[20:23] offset:208
	ds_write_b128 v57, v[28:31]
	ds_write_b128 v57, v[24:27] offset:208
	ds_write_b128 v58, v[52:55]
	ds_write_b128 v58, v[40:43] offset:208
	s_and_saveexec_b32 s1, s0
	s_cbranch_execz .LBB0_25
; %bb.24:
	v_and_b32_e32 v56, 0xffff, v60
	v_mad_u32_u24 v56, 0x1a0, v56, 0
	v_add3_u32 v56, v56, v61, v80
	ds_write_b128 v56, v[36:39]
	ds_write_b128 v56, v[48:51] offset:208
.LBB0_25:
	s_or_b32 exec_lo, exec_lo, s1
	v_cmp_gt_u32_e64 s0, 26, v66
	s_waitcnt lgkmcnt(0)
	s_barrier
	buffer_gl0_inv
                                        ; implicit-def: $vgpr62_vgpr63
                                        ; implicit-def: $vgpr58_vgpr59
	s_and_saveexec_b32 s1, s0
	s_cbranch_execz .LBB0_27
; %bb.26:
	ds_read_b128 v[0:3], v79
	ds_read_b128 v[4:7], v67 offset:416
	ds_read_b128 v[44:47], v67 offset:832
	;; [unrolled: 1-line block ×15, first 2 shown]
.LBB0_27:
	s_or_b32 exec_lo, exec_lo, s1
	s_waitcnt lgkmcnt(0)
	s_barrier
	buffer_gl0_inv
	s_and_saveexec_b32 s8, s0
	s_cbranch_execz .LBB0_29
; %bb.28:
	v_subrev_nc_u32_e32 v70, 26, v66
	v_mov_b32_e32 v71, 0
	s_mov_b32 s5, 0xbfe6a09e
	s_mov_b32 s6, 0xcf328d46
	;; [unrolled: 1-line block ×3, first 2 shown]
	v_cndmask_b32_e64 v70, v70, v66, s0
	s_mov_b32 s15, 0x3fd87de2
	s_mov_b32 s17, 0xbfed906b
	;; [unrolled: 1-line block ×3, first 2 shown]
	v_mul_i32_i24_e32 v70, 15, v70
	v_lshlrev_b64 v[70:71], 4, v[70:71]
	v_add_co_u32 v128, s0, s12, v70
	v_add_co_ci_u32_e64 v129, s0, s13, v71, s0
	s_mov_b32 s0, 0x667f3bcd
	s_mov_b32 s1, 0x3fe6a09e
	;; [unrolled: 1-line block ×3, first 2 shown]
	s_clause 0xe
	global_load_dwordx4 v[70:73], v[128:129], off offset:224
	global_load_dwordx4 v[74:77], v[128:129], off offset:352
	;; [unrolled: 1-line block ×15, first 2 shown]
	s_mov_b32 s12, 0xa6aea964
	s_mov_b32 s13, 0xbfd87de2
	;; [unrolled: 1-line block ×3, first 2 shown]
	s_waitcnt vmcnt(14)
	v_mul_f64 v[132:133], v[44:45], v[72:73]
	v_mul_f64 v[72:73], v[46:47], v[72:73]
	s_waitcnt vmcnt(13)
	v_mul_f64 v[134:135], v[52:53], v[76:77]
	v_mul_f64 v[76:77], v[54:55], v[76:77]
	;; [unrolled: 3-line block ×7, first 2 shown]
	s_waitcnt vmcnt(4)
	v_mul_f64 v[146:147], v[4:5], v[114:115]
	s_waitcnt vmcnt(0)
	v_mul_f64 v[148:149], v[58:59], v[130:131]
	v_fma_f64 v[46:47], v[46:47], v[70:71], -v[132:133]
	v_fma_f64 v[44:45], v[44:45], v[70:71], v[72:73]
	v_mul_f64 v[70:71], v[28:29], v[102:103]
	v_mul_f64 v[72:73], v[18:19], v[106:107]
	;; [unrolled: 1-line block ×3, first 2 shown]
	v_fma_f64 v[54:55], v[54:55], v[74:75], -v[134:135]
	v_fma_f64 v[52:53], v[52:53], v[74:75], v[76:77]
	v_mul_f64 v[74:75], v[24:25], v[118:119]
	v_mul_f64 v[76:77], v[14:15], v[122:123]
	;; [unrolled: 1-line block ×3, first 2 shown]
	v_fma_f64 v[32:33], v[32:33], v[80:81], v[136:137]
	v_fma_f64 v[34:35], v[34:35], v[80:81], -v[82:83]
	v_mul_f64 v[80:81], v[56:57], v[130:131]
	v_mul_f64 v[82:83], v[6:7], v[114:115]
	;; [unrolled: 1-line block ×4, first 2 shown]
	v_fma_f64 v[60:61], v[60:61], v[84:85], v[138:139]
	v_fma_f64 v[62:63], v[62:63], v[84:85], -v[86:87]
	v_mul_f64 v[84:85], v[48:49], v[126:127]
	v_mul_f64 v[86:87], v[16:17], v[106:107]
	;; [unrolled: 1-line block ×4, first 2 shown]
	v_fma_f64 v[10:11], v[10:11], v[88:89], -v[140:141]
	v_fma_f64 v[8:9], v[8:9], v[88:89], v[90:91]
	v_fma_f64 v[42:43], v[42:43], v[92:93], -v[142:143]
	v_fma_f64 v[40:41], v[40:41], v[92:93], v[94:95]
	v_fma_f64 v[20:21], v[20:21], v[96:97], v[144:145]
	v_fma_f64 v[22:23], v[22:23], v[96:97], -v[98:99]
	v_fma_f64 v[30:31], v[30:31], v[100:101], -v[70:71]
	v_fma_f64 v[16:17], v[16:17], v[104:105], v[72:73]
	v_fma_f64 v[36:37], v[36:37], v[108:109], v[132:133]
	v_fma_f64 v[6:7], v[6:7], v[112:113], -v[146:147]
	v_fma_f64 v[26:27], v[26:27], v[116:117], -v[74:75]
	v_fma_f64 v[12:13], v[12:13], v[120:121], v[76:77]
	v_fma_f64 v[48:49], v[48:49], v[124:125], v[134:135]
	;; [unrolled: 1-line block ×3, first 2 shown]
	v_fma_f64 v[58:59], v[58:59], v[128:129], -v[80:81]
	v_fma_f64 v[4:5], v[4:5], v[112:113], v[82:83]
	v_fma_f64 v[24:25], v[24:25], v[116:117], v[114:115]
	v_fma_f64 v[14:15], v[14:15], v[120:121], -v[118:119]
	v_fma_f64 v[50:51], v[50:51], v[124:125], -v[84:85]
	;; [unrolled: 1-line block ×4, first 2 shown]
	v_fma_f64 v[28:29], v[28:29], v[100:101], v[102:103]
	v_add_f64 v[54:55], v[46:47], -v[54:55]
	v_add_f64 v[60:61], v[32:33], -v[60:61]
	;; [unrolled: 1-line block ×17, first 2 shown]
	v_fma_f64 v[32:33], v[32:33], 2.0, -v[60:61]
	v_add_f64 v[74:75], v[52:53], v[62:63]
	v_fma_f64 v[34:35], v[34:35], 2.0, -v[62:63]
	v_fma_f64 v[8:9], v[8:9], 2.0, -v[40:41]
	;; [unrolled: 1-line block ×4, first 2 shown]
	v_add_f64 v[72:73], v[30:31], -v[36:37]
	v_fma_f64 v[16:17], v[16:17], 2.0, -v[36:37]
	v_fma_f64 v[6:7], v[6:7], 2.0, -v[26:27]
	v_add_f64 v[76:77], v[26:27], -v[48:49]
	v_add_f64 v[80:81], v[42:43], -v[56:57]
	v_add_f64 v[82:83], v[40:41], v[58:59]
	v_fma_f64 v[20:21], v[20:21], 2.0, -v[56:57]
	v_fma_f64 v[4:5], v[4:5], 2.0, -v[24:25]
	;; [unrolled: 1-line block ×3, first 2 shown]
	v_add_f64 v[84:85], v[24:25], v[50:51]
	v_fma_f64 v[14:15], v[14:15], 2.0, -v[50:51]
	v_fma_f64 v[18:19], v[18:19], 2.0, -v[38:39]
	v_add_f64 v[86:87], v[28:29], v[38:39]
	v_fma_f64 v[38:39], v[44:45], 2.0, -v[52:53]
	v_fma_f64 v[44:45], v[46:47], 2.0, -v[54:55]
	;; [unrolled: 1-line block ×7, first 2 shown]
	v_fma_f64 v[48:49], v[70:71], s[0:1], v[72:73]
	v_fma_f64 v[26:27], v[26:27], 2.0, -v[76:77]
	v_fma_f64 v[42:43], v[42:43], 2.0, -v[80:81]
	;; [unrolled: 1-line block ×3, first 2 shown]
	v_add_f64 v[20:21], v[8:9], -v[20:21]
	v_fma_f64 v[50:51], v[80:81], s[0:1], v[76:77]
	v_add_f64 v[12:13], v[4:5], -v[12:13]
	v_fma_f64 v[24:25], v[24:25], 2.0, -v[84:85]
	v_add_f64 v[14:15], v[6:7], -v[14:15]
	v_add_f64 v[18:19], v[2:3], -v[18:19]
	v_fma_f64 v[28:29], v[28:29], 2.0, -v[86:87]
	v_add_f64 v[32:33], v[38:39], -v[32:33]
	v_add_f64 v[34:35], v[44:45], -v[34:35]
	v_add_f64 v[16:17], v[0:1], -v[16:17]
	v_add_f64 v[22:23], v[10:11], -v[22:23]
	v_fma_f64 v[54:55], v[74:75], s[0:1], v[86:87]
	v_fma_f64 v[52:53], v[82:83], s[0:1], v[84:85]
	;; [unrolled: 1-line block ×5, first 2 shown]
	v_fma_f64 v[8:9], v[8:9], 2.0, -v[20:21]
	v_fma_f64 v[50:51], v[82:83], s[4:5], v[50:51]
	v_fma_f64 v[4:5], v[4:5], 2.0, -v[12:13]
	v_fma_f64 v[60:61], v[40:41], s[4:5], v[24:25]
	v_add_f64 v[20:21], v[14:15], -v[20:21]
	v_fma_f64 v[2:3], v[2:3], 2.0, -v[18:19]
	v_fma_f64 v[62:63], v[46:47], s[4:5], v[28:29]
	v_fma_f64 v[38:39], v[38:39], 2.0, -v[32:33]
	v_fma_f64 v[44:45], v[44:45], 2.0, -v[34:35]
	;; [unrolled: 1-line block ×3, first 2 shown]
	v_add_f64 v[32:33], v[18:19], -v[32:33]
	v_fma_f64 v[6:7], v[6:7], 2.0, -v[14:15]
	v_fma_f64 v[10:11], v[10:11], 2.0, -v[22:23]
	v_fma_f64 v[54:55], v[70:71], s[0:1], v[54:55]
	v_add_f64 v[22:23], v[12:13], v[22:23]
	v_add_f64 v[70:71], v[16:17], v[34:35]
	v_fma_f64 v[52:53], v[80:81], s[0:1], v[52:53]
	v_fma_f64 v[46:47], v[46:47], s[4:5], v[56:57]
	v_fma_f64 v[56:57], v[72:73], 2.0, -v[48:49]
	v_fma_f64 v[34:35], v[40:41], s[4:5], v[58:59]
	v_add_f64 v[8:9], v[4:5], -v[8:9]
	v_fma_f64 v[40:41], v[42:43], s[0:1], v[60:61]
	v_fma_f64 v[42:43], v[14:15], 2.0, -v[20:21]
	v_fma_f64 v[60:61], v[36:37], s[0:1], v[62:63]
	v_add_f64 v[36:37], v[2:3], -v[44:45]
	v_add_f64 v[44:45], v[0:1], -v[38:39]
	v_fma_f64 v[38:39], v[76:77], 2.0, -v[50:51]
	v_fma_f64 v[58:59], v[18:19], 2.0, -v[32:33]
	v_add_f64 v[14:15], v[6:7], -v[10:11]
	v_fma_f64 v[62:63], v[86:87], 2.0, -v[54:55]
	v_fma_f64 v[12:13], v[12:13], 2.0, -v[22:23]
	;; [unrolled: 1-line block ×5, first 2 shown]
	v_fma_f64 v[10:11], v[50:51], s[6:7], v[48:49]
	v_fma_f64 v[16:17], v[20:21], s[0:1], v[32:33]
	v_fma_f64 v[76:77], v[26:27], 2.0, -v[34:35]
	v_fma_f64 v[26:27], v[22:23], s[0:1], v[70:71]
	v_fma_f64 v[92:93], v[4:5], 2.0, -v[8:9]
	v_fma_f64 v[30:31], v[24:25], 2.0, -v[40:41]
	v_fma_f64 v[24:25], v[52:53], s[6:7], v[54:55]
	v_fma_f64 v[80:81], v[28:29], 2.0, -v[60:61]
	v_fma_f64 v[28:29], v[34:35], s[14:15], v[46:47]
	v_fma_f64 v[86:87], v[2:3], 2.0, -v[36:37]
	v_fma_f64 v[90:91], v[0:1], 2.0, -v[44:45]
	v_fma_f64 v[82:83], v[38:39], s[12:13], v[56:57]
	v_fma_f64 v[84:85], v[42:43], s[4:5], v[58:59]
	v_fma_f64 v[88:89], v[6:7], 2.0, -v[14:15]
	v_fma_f64 v[98:99], v[40:41], s[14:15], v[60:61]
	v_fma_f64 v[94:95], v[12:13], s[4:5], v[72:73]
	;; [unrolled: 1-line block ×4, first 2 shown]
	v_add_f64 v[10:11], v[36:37], -v[8:9]
	v_fma_f64 v[100:101], v[76:77], s[16:17], v[74:75]
	v_add_f64 v[8:9], v[44:45], v[14:15]
	v_fma_f64 v[6:7], v[22:23], s[4:5], v[16:17]
	v_fma_f64 v[4:5], v[20:21], s[0:1], v[26:27]
	;; [unrolled: 1-line block ×5, first 2 shown]
	v_add_f64 v[24:25], v[90:91], -v[92:93]
	v_fma_f64 v[18:19], v[18:19], s[16:17], v[82:83]
	v_fma_f64 v[22:23], v[12:13], s[4:5], v[84:85]
	v_add_f64 v[26:27], v[86:87], -v[88:89]
	v_fma_f64 v[12:13], v[34:35], s[6:7], v[98:99]
	v_fma_f64 v[20:21], v[42:43], s[0:1], v[94:95]
	;; [unrolled: 1-line block ×3, first 2 shown]
	v_fma_f64 v[34:35], v[48:49], 2.0, -v[2:3]
	v_fma_f64 v[42:43], v[36:37], 2.0, -v[10:11]
	v_fma_f64 v[30:31], v[30:31], s[12:13], v[100:101]
	v_fma_f64 v[40:41], v[44:45], 2.0, -v[8:9]
	v_fma_f64 v[38:39], v[32:33], 2.0, -v[6:7]
	v_fma_f64 v[36:37], v[70:71], 2.0, -v[4:5]
	v_fma_f64 v[32:33], v[54:55], 2.0, -v[0:1]
	v_fma_f64 v[28:29], v[76:77], s[14:15], v[102:103]
	v_fma_f64 v[46:47], v[46:47], 2.0, -v[14:15]
	v_fma_f64 v[50:51], v[56:57], 2.0, -v[18:19]
	;; [unrolled: 1-line block ×10, first 2 shown]
	ds_write_b128 v67, v[8:11] offset:4992
	ds_write_b128 v67, v[4:7] offset:5824
	;; [unrolled: 1-line block ×9, first 2 shown]
	ds_write_b128 v79, v[56:59]
	ds_write_b128 v67, v[52:55] offset:832
	ds_write_b128 v67, v[48:51] offset:1248
	;; [unrolled: 1-line block ×6, first 2 shown]
.LBB0_29:
	s_or_b32 exec_lo, exec_lo, s8
	s_waitcnt lgkmcnt(0)
	s_barrier
	buffer_gl0_inv
	s_and_saveexec_b32 s0, vcc_lo
	s_cbranch_execz .LBB0_31
; %bb.30:
	v_mul_lo_u32 v2, s3, v68
	v_mul_lo_u32 v3, s2, v69
	v_mad_u64_u32 v[0:1], null, s2, v68, 0
	v_mov_b32_e32 v67, 0
	v_lshlrev_b64 v[8:9], 4, v[64:65]
	v_lshl_add_u32 v28, v66, 4, v78
	v_add_nc_u32_e32 v10, 32, v66
	v_add_nc_u32_e32 v12, 64, v66
	v_lshlrev_b64 v[14:15], 4, v[66:67]
	v_add3_u32 v1, v1, v3, v2
	v_mov_b32_e32 v11, v67
	v_mov_b32_e32 v13, v67
	v_add_nc_u32_e32 v22, 0x60, v66
	v_mov_b32_e32 v23, v67
	v_lshlrev_b64 v[16:17], 4, v[0:1]
	ds_read_b128 v[0:3], v28
	ds_read_b128 v[4:7], v28 offset:512
	v_add_nc_u32_e32 v24, 0x80, v66
	v_mov_b32_e32 v25, v67
	v_lshlrev_b64 v[22:23], 4, v[22:23]
	v_add_co_u32 v18, vcc_lo, s10, v16
	v_add_co_ci_u32_e32 v19, vcc_lo, s11, v17, vcc_lo
	v_lshlrev_b64 v[16:17], 4, v[10:11]
	v_add_co_u32 v30, vcc_lo, v18, v8
	v_add_co_ci_u32_e32 v31, vcc_lo, v19, v9, vcc_lo
	;; [unrolled: 3-line block ×3, first 2 shown]
	ds_read_b128 v[8:11], v28 offset:1024
	ds_read_b128 v[12:15], v28 offset:1536
	v_add_co_u32 v16, vcc_lo, v30, v16
	v_add_co_ci_u32_e32 v17, vcc_lo, v31, v17, vcc_lo
	v_add_co_u32 v18, vcc_lo, v30, v18
	v_add_co_ci_u32_e32 v19, vcc_lo, v31, v19, vcc_lo
	;; [unrolled: 2-line block ×3, first 2 shown]
	s_waitcnt lgkmcnt(3)
	global_store_dwordx4 v[20:21], v[0:3], off
	s_waitcnt lgkmcnt(2)
	global_store_dwordx4 v[16:17], v[4:7], off
	;; [unrolled: 2-line block ×4, first 2 shown]
	v_lshlrev_b64 v[0:1], 4, v[24:25]
	v_add_nc_u32_e32 v8, 0xa0, v66
	v_mov_b32_e32 v9, v67
	v_add_nc_u32_e32 v10, 0xc0, v66
	v_mov_b32_e32 v11, v67
	v_add_nc_u32_e32 v22, 0xe0, v66
	v_add_co_u32 v16, vcc_lo, v30, v0
	v_add_co_ci_u32_e32 v17, vcc_lo, v31, v1, vcc_lo
	ds_read_b128 v[0:3], v28 offset:2048
	ds_read_b128 v[4:7], v28 offset:2560
	v_lshlrev_b64 v[18:19], 4, v[8:9]
	v_lshlrev_b64 v[20:21], 4, v[10:11]
	ds_read_b128 v[8:11], v28 offset:3072
	ds_read_b128 v[12:15], v28 offset:3584
	v_mov_b32_e32 v23, v67
	v_add_nc_u32_e32 v24, 0x100, v66
	v_add_co_u32 v18, vcc_lo, v30, v18
	v_lshlrev_b64 v[22:23], 4, v[22:23]
	v_add_co_ci_u32_e32 v19, vcc_lo, v31, v19, vcc_lo
	v_add_co_u32 v20, vcc_lo, v30, v20
	v_add_co_ci_u32_e32 v21, vcc_lo, v31, v21, vcc_lo
	v_add_co_u32 v22, vcc_lo, v30, v22
	s_waitcnt lgkmcnt(3)
	global_store_dwordx4 v[16:17], v[0:3], off
	s_waitcnt lgkmcnt(2)
	global_store_dwordx4 v[18:19], v[4:7], off
	v_add_nc_u32_e32 v2, 0x120, v66
	v_mov_b32_e32 v3, v67
	v_add_co_ci_u32_e32 v23, vcc_lo, v31, v23, vcc_lo
	v_lshlrev_b64 v[0:1], 4, v[24:25]
	s_waitcnt lgkmcnt(1)
	global_store_dwordx4 v[20:21], v[8:11], off
	s_waitcnt lgkmcnt(0)
	global_store_dwordx4 v[22:23], v[12:15], off
	v_lshlrev_b64 v[8:9], 4, v[2:3]
	v_add_nc_u32_e32 v10, 0x140, v66
	v_mov_b32_e32 v11, v67
	v_add_co_u32 v20, vcc_lo, v30, v0
	v_add_co_ci_u32_e32 v21, vcc_lo, v31, v1, vcc_lo
	v_add_co_u32 v22, vcc_lo, v30, v8
	ds_read_b128 v[0:3], v28 offset:4096
	ds_read_b128 v[4:7], v28 offset:4608
	v_add_co_ci_u32_e32 v23, vcc_lo, v31, v9, vcc_lo
	v_lshlrev_b64 v[26:27], 4, v[10:11]
	ds_read_b128 v[8:11], v28 offset:5120
	ds_read_b128 v[12:15], v28 offset:5632
	;; [unrolled: 1-line block ×3, first 2 shown]
	v_add_nc_u32_e32 v24, 0x160, v66
	v_add_nc_u32_e32 v66, 0x180, v66
	v_add_co_u32 v26, vcc_lo, v30, v26
	v_lshlrev_b64 v[24:25], 4, v[24:25]
	v_lshlrev_b64 v[28:29], 4, v[66:67]
	v_add_co_ci_u32_e32 v27, vcc_lo, v31, v27, vcc_lo
	v_add_co_u32 v24, vcc_lo, v30, v24
	v_add_co_ci_u32_e32 v25, vcc_lo, v31, v25, vcc_lo
	v_add_co_u32 v28, vcc_lo, v30, v28
	v_add_co_ci_u32_e32 v29, vcc_lo, v31, v29, vcc_lo
	s_waitcnt lgkmcnt(4)
	global_store_dwordx4 v[20:21], v[0:3], off
	s_waitcnt lgkmcnt(3)
	global_store_dwordx4 v[22:23], v[4:7], off
	;; [unrolled: 2-line block ×5, first 2 shown]
.LBB0_31:
	s_endpgm
	.section	.rodata,"a",@progbits
	.p2align	6, 0x0
	.amdhsa_kernel fft_rtc_back_len416_factors_13_2_16_wgs_64_tpt_32_dp_op_CI_CI_unitstride_sbrr_C2R_dirReg
		.amdhsa_group_segment_fixed_size 0
		.amdhsa_private_segment_fixed_size 0
		.amdhsa_kernarg_size 104
		.amdhsa_user_sgpr_count 6
		.amdhsa_user_sgpr_private_segment_buffer 1
		.amdhsa_user_sgpr_dispatch_ptr 0
		.amdhsa_user_sgpr_queue_ptr 0
		.amdhsa_user_sgpr_kernarg_segment_ptr 1
		.amdhsa_user_sgpr_dispatch_id 0
		.amdhsa_user_sgpr_flat_scratch_init 0
		.amdhsa_user_sgpr_private_segment_size 0
		.amdhsa_wavefront_size32 1
		.amdhsa_uses_dynamic_stack 0
		.amdhsa_system_sgpr_private_segment_wavefront_offset 0
		.amdhsa_system_sgpr_workgroup_id_x 1
		.amdhsa_system_sgpr_workgroup_id_y 0
		.amdhsa_system_sgpr_workgroup_id_z 0
		.amdhsa_system_sgpr_workgroup_info 0
		.amdhsa_system_vgpr_workitem_id 0
		.amdhsa_next_free_vgpr 151
		.amdhsa_next_free_sgpr 44
		.amdhsa_reserve_vcc 1
		.amdhsa_reserve_flat_scratch 0
		.amdhsa_float_round_mode_32 0
		.amdhsa_float_round_mode_16_64 0
		.amdhsa_float_denorm_mode_32 3
		.amdhsa_float_denorm_mode_16_64 3
		.amdhsa_dx10_clamp 1
		.amdhsa_ieee_mode 1
		.amdhsa_fp16_overflow 0
		.amdhsa_workgroup_processor_mode 1
		.amdhsa_memory_ordered 1
		.amdhsa_forward_progress 0
		.amdhsa_shared_vgpr_count 0
		.amdhsa_exception_fp_ieee_invalid_op 0
		.amdhsa_exception_fp_denorm_src 0
		.amdhsa_exception_fp_ieee_div_zero 0
		.amdhsa_exception_fp_ieee_overflow 0
		.amdhsa_exception_fp_ieee_underflow 0
		.amdhsa_exception_fp_ieee_inexact 0
		.amdhsa_exception_int_div_zero 0
	.end_amdhsa_kernel
	.text
.Lfunc_end0:
	.size	fft_rtc_back_len416_factors_13_2_16_wgs_64_tpt_32_dp_op_CI_CI_unitstride_sbrr_C2R_dirReg, .Lfunc_end0-fft_rtc_back_len416_factors_13_2_16_wgs_64_tpt_32_dp_op_CI_CI_unitstride_sbrr_C2R_dirReg
                                        ; -- End function
	.section	.AMDGPU.csdata,"",@progbits
; Kernel info:
; codeLenInByte = 11456
; NumSgprs: 46
; NumVgprs: 151
; ScratchSize: 0
; MemoryBound: 0
; FloatMode: 240
; IeeeMode: 1
; LDSByteSize: 0 bytes/workgroup (compile time only)
; SGPRBlocks: 5
; VGPRBlocks: 18
; NumSGPRsForWavesPerEU: 46
; NumVGPRsForWavesPerEU: 151
; Occupancy: 6
; WaveLimiterHint : 1
; COMPUTE_PGM_RSRC2:SCRATCH_EN: 0
; COMPUTE_PGM_RSRC2:USER_SGPR: 6
; COMPUTE_PGM_RSRC2:TRAP_HANDLER: 0
; COMPUTE_PGM_RSRC2:TGID_X_EN: 1
; COMPUTE_PGM_RSRC2:TGID_Y_EN: 0
; COMPUTE_PGM_RSRC2:TGID_Z_EN: 0
; COMPUTE_PGM_RSRC2:TIDIG_COMP_CNT: 0
	.text
	.p2alignl 6, 3214868480
	.fill 48, 4, 3214868480
	.type	__hip_cuid_6d9d7ebf1d26d65,@object ; @__hip_cuid_6d9d7ebf1d26d65
	.section	.bss,"aw",@nobits
	.globl	__hip_cuid_6d9d7ebf1d26d65
__hip_cuid_6d9d7ebf1d26d65:
	.byte	0                               ; 0x0
	.size	__hip_cuid_6d9d7ebf1d26d65, 1

	.ident	"AMD clang version 19.0.0git (https://github.com/RadeonOpenCompute/llvm-project roc-6.4.0 25133 c7fe45cf4b819c5991fe208aaa96edf142730f1d)"
	.section	".note.GNU-stack","",@progbits
	.addrsig
	.addrsig_sym __hip_cuid_6d9d7ebf1d26d65
	.amdgpu_metadata
---
amdhsa.kernels:
  - .args:
      - .actual_access:  read_only
        .address_space:  global
        .offset:         0
        .size:           8
        .value_kind:     global_buffer
      - .offset:         8
        .size:           8
        .value_kind:     by_value
      - .actual_access:  read_only
        .address_space:  global
        .offset:         16
        .size:           8
        .value_kind:     global_buffer
      - .actual_access:  read_only
        .address_space:  global
        .offset:         24
        .size:           8
        .value_kind:     global_buffer
      - .actual_access:  read_only
        .address_space:  global
        .offset:         32
        .size:           8
        .value_kind:     global_buffer
      - .offset:         40
        .size:           8
        .value_kind:     by_value
      - .actual_access:  read_only
        .address_space:  global
        .offset:         48
        .size:           8
        .value_kind:     global_buffer
      - .actual_access:  read_only
        .address_space:  global
        .offset:         56
        .size:           8
        .value_kind:     global_buffer
      - .offset:         64
        .size:           4
        .value_kind:     by_value
      - .actual_access:  read_only
        .address_space:  global
        .offset:         72
        .size:           8
        .value_kind:     global_buffer
      - .actual_access:  read_only
        .address_space:  global
        .offset:         80
        .size:           8
        .value_kind:     global_buffer
      - .actual_access:  read_only
        .address_space:  global
        .offset:         88
        .size:           8
        .value_kind:     global_buffer
      - .actual_access:  write_only
        .address_space:  global
        .offset:         96
        .size:           8
        .value_kind:     global_buffer
    .group_segment_fixed_size: 0
    .kernarg_segment_align: 8
    .kernarg_segment_size: 104
    .language:       OpenCL C
    .language_version:
      - 2
      - 0
    .max_flat_workgroup_size: 64
    .name:           fft_rtc_back_len416_factors_13_2_16_wgs_64_tpt_32_dp_op_CI_CI_unitstride_sbrr_C2R_dirReg
    .private_segment_fixed_size: 0
    .sgpr_count:     46
    .sgpr_spill_count: 0
    .symbol:         fft_rtc_back_len416_factors_13_2_16_wgs_64_tpt_32_dp_op_CI_CI_unitstride_sbrr_C2R_dirReg.kd
    .uniform_work_group_size: 1
    .uses_dynamic_stack: false
    .vgpr_count:     151
    .vgpr_spill_count: 0
    .wavefront_size: 32
    .workgroup_processor_mode: 1
amdhsa.target:   amdgcn-amd-amdhsa--gfx1030
amdhsa.version:
  - 1
  - 2
...

	.end_amdgpu_metadata
